;; amdgpu-corpus repo=LLNL/RAJAPerf kind=compiled arch=gfx906 opt=O3
	.amdgcn_target "amdgcn-amd-amdhsa--gfx906"
	.amdhsa_code_object_version 6
	.section	.text._ZN4RAJA8internal22HipKernelLauncherFixedILi1024ENS0_8LoopDataIN4camp5tupleIJNS_4SpanINS_9Iterators16numeric_iteratorIiiPiEEiEESA_SA_EEENS4_IJEEENS3_9resources2v13HipEJZ4mainEUliiiE0_EEENS0_24HipStatementListExecutorISH_NS3_4listIJNS_9statement3ForILl2ENS_6policy3hip11hip_indexerINS_17iteration_mapping11StridedLoopILm0EEELNS_23kernel_sync_requirementE0EJNS_3hip11IndexGlobalILNS_9named_dimE2ELi0ELin1EEEEEEJNSL_ILl1ENSO_ISR_LSS_0EJNSU_ILSV_1ELi0ELin1EEEEEEJNSL_ILl0ENSO_ISR_LSS_0EJNSU_ILSV_0ELi0ELin1EEEEEEJNSK_6LambdaILl0EJEEEEEEEEEEEEEEENS0_9LoopTypesINSJ_IJvvvEEES19_EEEEEEvT0_,"axG",@progbits,_ZN4RAJA8internal22HipKernelLauncherFixedILi1024ENS0_8LoopDataIN4camp5tupleIJNS_4SpanINS_9Iterators16numeric_iteratorIiiPiEEiEESA_SA_EEENS4_IJEEENS3_9resources2v13HipEJZ4mainEUliiiE0_EEENS0_24HipStatementListExecutorISH_NS3_4listIJNS_9statement3ForILl2ENS_6policy3hip11hip_indexerINS_17iteration_mapping11StridedLoopILm0EEELNS_23kernel_sync_requirementE0EJNS_3hip11IndexGlobalILNS_9named_dimE2ELi0ELin1EEEEEEJNSL_ILl1ENSO_ISR_LSS_0EJNSU_ILSV_1ELi0ELin1EEEEEEJNSL_ILl0ENSO_ISR_LSS_0EJNSU_ILSV_0ELi0ELin1EEEEEEJNSK_6LambdaILl0EJEEEEEEEEEEEEEEENS0_9LoopTypesINSJ_IJvvvEEES19_EEEEEEvT0_,comdat
	.globl	_ZN4RAJA8internal22HipKernelLauncherFixedILi1024ENS0_8LoopDataIN4camp5tupleIJNS_4SpanINS_9Iterators16numeric_iteratorIiiPiEEiEESA_SA_EEENS4_IJEEENS3_9resources2v13HipEJZ4mainEUliiiE0_EEENS0_24HipStatementListExecutorISH_NS3_4listIJNS_9statement3ForILl2ENS_6policy3hip11hip_indexerINS_17iteration_mapping11StridedLoopILm0EEELNS_23kernel_sync_requirementE0EJNS_3hip11IndexGlobalILNS_9named_dimE2ELi0ELin1EEEEEEJNSL_ILl1ENSO_ISR_LSS_0EJNSU_ILSV_1ELi0ELin1EEEEEEJNSL_ILl0ENSO_ISR_LSS_0EJNSU_ILSV_0ELi0ELin1EEEEEEJNSK_6LambdaILl0EJEEEEEEEEEEEEEEENS0_9LoopTypesINSJ_IJvvvEEES19_EEEEEEvT0_ ; -- Begin function _ZN4RAJA8internal22HipKernelLauncherFixedILi1024ENS0_8LoopDataIN4camp5tupleIJNS_4SpanINS_9Iterators16numeric_iteratorIiiPiEEiEESA_SA_EEENS4_IJEEENS3_9resources2v13HipEJZ4mainEUliiiE0_EEENS0_24HipStatementListExecutorISH_NS3_4listIJNS_9statement3ForILl2ENS_6policy3hip11hip_indexerINS_17iteration_mapping11StridedLoopILm0EEELNS_23kernel_sync_requirementE0EJNS_3hip11IndexGlobalILNS_9named_dimE2ELi0ELin1EEEEEEJNSL_ILl1ENSO_ISR_LSS_0EJNSU_ILSV_1ELi0ELin1EEEEEEJNSL_ILl0ENSO_ISR_LSS_0EJNSU_ILSV_0ELi0ELin1EEEEEEJNSK_6LambdaILl0EJEEEEEEEEEEEEEEENS0_9LoopTypesINSJ_IJvvvEEES19_EEEEEEvT0_
	.p2align	8
	.type	_ZN4RAJA8internal22HipKernelLauncherFixedILi1024ENS0_8LoopDataIN4camp5tupleIJNS_4SpanINS_9Iterators16numeric_iteratorIiiPiEEiEESA_SA_EEENS4_IJEEENS3_9resources2v13HipEJZ4mainEUliiiE0_EEENS0_24HipStatementListExecutorISH_NS3_4listIJNS_9statement3ForILl2ENS_6policy3hip11hip_indexerINS_17iteration_mapping11StridedLoopILm0EEELNS_23kernel_sync_requirementE0EJNS_3hip11IndexGlobalILNS_9named_dimE2ELi0ELin1EEEEEEJNSL_ILl1ENSO_ISR_LSS_0EJNSU_ILSV_1ELi0ELin1EEEEEEJNSL_ILl0ENSO_ISR_LSS_0EJNSU_ILSV_0ELi0ELin1EEEEEEJNSK_6LambdaILl0EJEEEEEEEEEEEEEEENS0_9LoopTypesINSJ_IJvvvEEES19_EEEEEEvT0_,@function
_ZN4RAJA8internal22HipKernelLauncherFixedILi1024ENS0_8LoopDataIN4camp5tupleIJNS_4SpanINS_9Iterators16numeric_iteratorIiiPiEEiEESA_SA_EEENS4_IJEEENS3_9resources2v13HipEJZ4mainEUliiiE0_EEENS0_24HipStatementListExecutorISH_NS3_4listIJNS_9statement3ForILl2ENS_6policy3hip11hip_indexerINS_17iteration_mapping11StridedLoopILm0EEELNS_23kernel_sync_requirementE0EJNS_3hip11IndexGlobalILNS_9named_dimE2ELi0ELin1EEEEEEJNSL_ILl1ENSO_ISR_LSS_0EJNSU_ILSV_1ELi0ELin1EEEEEEJNSL_ILl0ENSO_ISR_LSS_0EJNSU_ILSV_0ELi0ELin1EEEEEEJNSK_6LambdaILl0EJEEEEEEEEEEEEEEENS0_9LoopTypesINSJ_IJvvvEEES19_EEEEEEvT0_: ; @_ZN4RAJA8internal22HipKernelLauncherFixedILi1024ENS0_8LoopDataIN4camp5tupleIJNS_4SpanINS_9Iterators16numeric_iteratorIiiPiEEiEESA_SA_EEENS4_IJEEENS3_9resources2v13HipEJZ4mainEUliiiE0_EEENS0_24HipStatementListExecutorISH_NS3_4listIJNS_9statement3ForILl2ENS_6policy3hip11hip_indexerINS_17iteration_mapping11StridedLoopILm0EEELNS_23kernel_sync_requirementE0EJNS_3hip11IndexGlobalILNS_9named_dimE2ELi0ELin1EEEEEEJNSL_ILl1ENSO_ISR_LSS_0EJNSU_ILSV_1ELi0ELin1EEEEEEJNSL_ILl0ENSO_ISR_LSS_0EJNSU_ILSV_0ELi0ELin1EEEEEEJNSK_6LambdaILl0EJEEEEEEEEEEEEEEENS0_9LoopTypesINSJ_IJvvvEEES19_EEEEEEvT0_
; %bb.0:
	s_load_dwordx2 s[6:7], s[4:5], 0x10
	s_waitcnt lgkmcnt(0)
	s_sub_i32 s7, s7, s6
	v_cmp_gt_i32_e32 vcc, s7, v2
	s_and_saveexec_b64 s[0:1], vcc
	s_cbranch_execz .LBB0_9
; %bb.1:
	s_load_dwordx4 s[8:11], s[4:5], 0x44
	s_load_dwordx2 s[0:1], s[4:5], 0x8c
	s_load_dwordx4 s[12:15], s[4:5], 0x0
	s_load_dwordx2 s[16:17], s[4:5], 0x30
	v_add_u32_e32 v3, s6, v2
	s_waitcnt lgkmcnt(0)
	v_mul_lo_u32 v3, s10, v3
	s_add_u32 s4, s4, 0x80
	v_add_u32_e32 v4, s14, v1
	v_add_u32_e32 v5, s12, v0
	v_mul_lo_u32 v4, s9, v4
	v_mul_lo_u32 v5, s8, v5
	s_addc_u32 s5, s5, 0
	s_and_b32 s28, s1, 0xffff
	s_sub_i32 s15, s15, s14
	s_lshr_b32 s29, s0, 16
	s_sub_i32 s13, s13, s12
	s_mov_b32 s18, 0xeb1c432d
	v_cmp_gt_i32_e32 vcc, s15, v1
	v_cmp_gt_i32_e64 s[0:1], s13, v0
	v_add3_u32 v9, v3, v4, v5
	s_mul_i32 s30, s10, s28
	s_mul_i32 s9, s9, s29
	s_mov_b64 s[10:11], 0
	s_mov_b32 s19, 0x3f1a36e2
	s_branch .LBB0_3
.LBB0_2:                                ;   in Loop: Header=BB0_3 Depth=1
	s_or_b64 exec, exec, s[20:21]
	v_add_u32_e32 v2, s28, v2
	v_cmp_le_i32_e64 s[2:3], s7, v2
	s_or_b64 s[10:11], s[2:3], s[10:11]
	v_add_u32_e32 v9, s30, v9
	s_andn2_b64 exec, exec, s[10:11]
	s_cbranch_execz .LBB0_9
.LBB0_3:                                ; =>This Loop Header: Depth=1
                                        ;     Child Loop BB0_6 Depth 2
                                        ;       Child Loop BB0_8 Depth 3
	s_and_saveexec_b64 s[20:21], vcc
	s_cbranch_execz .LBB0_2
; %bb.4:                                ;   in Loop: Header=BB0_3 Depth=1
	s_load_dword s2, s[4:5], 0xc
	v_add_u32_e32 v3, s6, v2
	v_cvt_f64_i32_e32 v[3:4], v3
	s_mov_b64 s[22:23], 0
	v_mov_b32_e32 v10, v9
	s_waitcnt lgkmcnt(0)
	s_and_b32 s31, s2, 0xffff
	s_mul_i32 s33, s8, s31
	v_mov_b32_e32 v11, v1
	s_branch .LBB0_6
.LBB0_5:                                ;   in Loop: Header=BB0_6 Depth=2
	s_or_b64 exec, exec, s[24:25]
	v_add_u32_e32 v11, s29, v11
	v_cmp_le_i32_e64 s[2:3], s15, v11
	s_or_b64 s[22:23], s[2:3], s[22:23]
	v_add_u32_e32 v10, s9, v10
	s_andn2_b64 exec, exec, s[22:23]
	s_cbranch_execz .LBB0_2
.LBB0_6:                                ;   Parent Loop BB0_3 Depth=1
                                        ; =>  This Loop Header: Depth=2
                                        ;       Child Loop BB0_8 Depth 3
	s_and_saveexec_b64 s[24:25], s[0:1]
	s_cbranch_execz .LBB0_5
; %bb.7:                                ;   in Loop: Header=BB0_6 Depth=2
	v_add_u32_e32 v5, s14, v11
	v_cvt_f64_i32_e32 v[5:6], v5
	s_mov_b64 s[26:27], 0
	v_mov_b32_e32 v7, v10
	v_mov_b32_e32 v12, v0
.LBB0_8:                                ;   Parent Loop BB0_3 Depth=1
                                        ;     Parent Loop BB0_6 Depth=2
                                        ; =>    This Inner Loop Header: Depth=3
	v_add_u32_e32 v8, s12, v12
	v_cvt_f64_i32_e32 v[13:14], v8
	v_ashrrev_i32_e32 v8, 31, v7
	v_add_u32_e32 v12, s31, v12
	v_lshlrev_b64 v[15:16], 3, v[7:8]
	v_mul_f64 v[13:14], v[13:14], s[18:19]
	v_cmp_le_i32_e64 s[2:3], s13, v12
	v_mov_b32_e32 v17, s17
	s_or_b64 s[26:27], s[2:3], s[26:27]
	v_add_co_u32_e64 v15, s[2:3], s16, v15
	v_add_u32_e32 v7, s33, v7
	v_addc_co_u32_e64 v16, s[2:3], v17, v16, s[2:3]
	v_mul_f64 v[13:14], v[13:14], v[5:6]
	v_mul_f64 v[13:14], v[13:14], v[3:4]
	global_store_dwordx2 v[15:16], v[13:14], off
	s_andn2_b64 exec, exec, s[26:27]
	s_cbranch_execnz .LBB0_8
	s_branch .LBB0_5
.LBB0_9:
	s_endpgm
	.section	.rodata,"a",@progbits
	.p2align	6, 0x0
	.amdhsa_kernel _ZN4RAJA8internal22HipKernelLauncherFixedILi1024ENS0_8LoopDataIN4camp5tupleIJNS_4SpanINS_9Iterators16numeric_iteratorIiiPiEEiEESA_SA_EEENS4_IJEEENS3_9resources2v13HipEJZ4mainEUliiiE0_EEENS0_24HipStatementListExecutorISH_NS3_4listIJNS_9statement3ForILl2ENS_6policy3hip11hip_indexerINS_17iteration_mapping11StridedLoopILm0EEELNS_23kernel_sync_requirementE0EJNS_3hip11IndexGlobalILNS_9named_dimE2ELi0ELin1EEEEEEJNSL_ILl1ENSO_ISR_LSS_0EJNSU_ILSV_1ELi0ELin1EEEEEEJNSL_ILl0ENSO_ISR_LSS_0EJNSU_ILSV_0ELi0ELin1EEEEEEJNSK_6LambdaILl0EJEEEEEEEEEEEEEEENS0_9LoopTypesINSJ_IJvvvEEES19_EEEEEEvT0_
		.amdhsa_group_segment_fixed_size 0
		.amdhsa_private_segment_fixed_size 0
		.amdhsa_kernarg_size 384
		.amdhsa_user_sgpr_count 6
		.amdhsa_user_sgpr_private_segment_buffer 1
		.amdhsa_user_sgpr_dispatch_ptr 0
		.amdhsa_user_sgpr_queue_ptr 0
		.amdhsa_user_sgpr_kernarg_segment_ptr 1
		.amdhsa_user_sgpr_dispatch_id 0
		.amdhsa_user_sgpr_flat_scratch_init 0
		.amdhsa_user_sgpr_private_segment_size 0
		.amdhsa_uses_dynamic_stack 0
		.amdhsa_system_sgpr_private_segment_wavefront_offset 0
		.amdhsa_system_sgpr_workgroup_id_x 1
		.amdhsa_system_sgpr_workgroup_id_y 0
		.amdhsa_system_sgpr_workgroup_id_z 0
		.amdhsa_system_sgpr_workgroup_info 0
		.amdhsa_system_vgpr_workitem_id 2
		.amdhsa_next_free_vgpr 18
		.amdhsa_next_free_sgpr 34
		.amdhsa_reserve_vcc 1
		.amdhsa_reserve_flat_scratch 0
		.amdhsa_float_round_mode_32 0
		.amdhsa_float_round_mode_16_64 0
		.amdhsa_float_denorm_mode_32 3
		.amdhsa_float_denorm_mode_16_64 3
		.amdhsa_dx10_clamp 1
		.amdhsa_ieee_mode 1
		.amdhsa_fp16_overflow 0
		.amdhsa_exception_fp_ieee_invalid_op 0
		.amdhsa_exception_fp_denorm_src 0
		.amdhsa_exception_fp_ieee_div_zero 0
		.amdhsa_exception_fp_ieee_overflow 0
		.amdhsa_exception_fp_ieee_underflow 0
		.amdhsa_exception_fp_ieee_inexact 0
		.amdhsa_exception_int_div_zero 0
	.end_amdhsa_kernel
	.section	.text._ZN4RAJA8internal22HipKernelLauncherFixedILi1024ENS0_8LoopDataIN4camp5tupleIJNS_4SpanINS_9Iterators16numeric_iteratorIiiPiEEiEESA_SA_EEENS4_IJEEENS3_9resources2v13HipEJZ4mainEUliiiE0_EEENS0_24HipStatementListExecutorISH_NS3_4listIJNS_9statement3ForILl2ENS_6policy3hip11hip_indexerINS_17iteration_mapping11StridedLoopILm0EEELNS_23kernel_sync_requirementE0EJNS_3hip11IndexGlobalILNS_9named_dimE2ELi0ELin1EEEEEEJNSL_ILl1ENSO_ISR_LSS_0EJNSU_ILSV_1ELi0ELin1EEEEEEJNSL_ILl0ENSO_ISR_LSS_0EJNSU_ILSV_0ELi0ELin1EEEEEEJNSK_6LambdaILl0EJEEEEEEEEEEEEEEENS0_9LoopTypesINSJ_IJvvvEEES19_EEEEEEvT0_,"axG",@progbits,_ZN4RAJA8internal22HipKernelLauncherFixedILi1024ENS0_8LoopDataIN4camp5tupleIJNS_4SpanINS_9Iterators16numeric_iteratorIiiPiEEiEESA_SA_EEENS4_IJEEENS3_9resources2v13HipEJZ4mainEUliiiE0_EEENS0_24HipStatementListExecutorISH_NS3_4listIJNS_9statement3ForILl2ENS_6policy3hip11hip_indexerINS_17iteration_mapping11StridedLoopILm0EEELNS_23kernel_sync_requirementE0EJNS_3hip11IndexGlobalILNS_9named_dimE2ELi0ELin1EEEEEEJNSL_ILl1ENSO_ISR_LSS_0EJNSU_ILSV_1ELi0ELin1EEEEEEJNSL_ILl0ENSO_ISR_LSS_0EJNSU_ILSV_0ELi0ELin1EEEEEEJNSK_6LambdaILl0EJEEEEEEEEEEEEEEENS0_9LoopTypesINSJ_IJvvvEEES19_EEEEEEvT0_,comdat
.Lfunc_end0:
	.size	_ZN4RAJA8internal22HipKernelLauncherFixedILi1024ENS0_8LoopDataIN4camp5tupleIJNS_4SpanINS_9Iterators16numeric_iteratorIiiPiEEiEESA_SA_EEENS4_IJEEENS3_9resources2v13HipEJZ4mainEUliiiE0_EEENS0_24HipStatementListExecutorISH_NS3_4listIJNS_9statement3ForILl2ENS_6policy3hip11hip_indexerINS_17iteration_mapping11StridedLoopILm0EEELNS_23kernel_sync_requirementE0EJNS_3hip11IndexGlobalILNS_9named_dimE2ELi0ELin1EEEEEEJNSL_ILl1ENSO_ISR_LSS_0EJNSU_ILSV_1ELi0ELin1EEEEEEJNSL_ILl0ENSO_ISR_LSS_0EJNSU_ILSV_0ELi0ELin1EEEEEEJNSK_6LambdaILl0EJEEEEEEEEEEEEEEENS0_9LoopTypesINSJ_IJvvvEEES19_EEEEEEvT0_, .Lfunc_end0-_ZN4RAJA8internal22HipKernelLauncherFixedILi1024ENS0_8LoopDataIN4camp5tupleIJNS_4SpanINS_9Iterators16numeric_iteratorIiiPiEEiEESA_SA_EEENS4_IJEEENS3_9resources2v13HipEJZ4mainEUliiiE0_EEENS0_24HipStatementListExecutorISH_NS3_4listIJNS_9statement3ForILl2ENS_6policy3hip11hip_indexerINS_17iteration_mapping11StridedLoopILm0EEELNS_23kernel_sync_requirementE0EJNS_3hip11IndexGlobalILNS_9named_dimE2ELi0ELin1EEEEEEJNSL_ILl1ENSO_ISR_LSS_0EJNSU_ILSV_1ELi0ELin1EEEEEEJNSL_ILl0ENSO_ISR_LSS_0EJNSU_ILSV_0ELi0ELin1EEEEEEJNSK_6LambdaILl0EJEEEEEEEEEEEEEEENS0_9LoopTypesINSJ_IJvvvEEES19_EEEEEEvT0_
                                        ; -- End function
	.set _ZN4RAJA8internal22HipKernelLauncherFixedILi1024ENS0_8LoopDataIN4camp5tupleIJNS_4SpanINS_9Iterators16numeric_iteratorIiiPiEEiEESA_SA_EEENS4_IJEEENS3_9resources2v13HipEJZ4mainEUliiiE0_EEENS0_24HipStatementListExecutorISH_NS3_4listIJNS_9statement3ForILl2ENS_6policy3hip11hip_indexerINS_17iteration_mapping11StridedLoopILm0EEELNS_23kernel_sync_requirementE0EJNS_3hip11IndexGlobalILNS_9named_dimE2ELi0ELin1EEEEEEJNSL_ILl1ENSO_ISR_LSS_0EJNSU_ILSV_1ELi0ELin1EEEEEEJNSL_ILl0ENSO_ISR_LSS_0EJNSU_ILSV_0ELi0ELin1EEEEEEJNSK_6LambdaILl0EJEEEEEEEEEEEEEEENS0_9LoopTypesINSJ_IJvvvEEES19_EEEEEEvT0_.num_vgpr, 18
	.set _ZN4RAJA8internal22HipKernelLauncherFixedILi1024ENS0_8LoopDataIN4camp5tupleIJNS_4SpanINS_9Iterators16numeric_iteratorIiiPiEEiEESA_SA_EEENS4_IJEEENS3_9resources2v13HipEJZ4mainEUliiiE0_EEENS0_24HipStatementListExecutorISH_NS3_4listIJNS_9statement3ForILl2ENS_6policy3hip11hip_indexerINS_17iteration_mapping11StridedLoopILm0EEELNS_23kernel_sync_requirementE0EJNS_3hip11IndexGlobalILNS_9named_dimE2ELi0ELin1EEEEEEJNSL_ILl1ENSO_ISR_LSS_0EJNSU_ILSV_1ELi0ELin1EEEEEEJNSL_ILl0ENSO_ISR_LSS_0EJNSU_ILSV_0ELi0ELin1EEEEEEJNSK_6LambdaILl0EJEEEEEEEEEEEEEEENS0_9LoopTypesINSJ_IJvvvEEES19_EEEEEEvT0_.num_agpr, 0
	.set _ZN4RAJA8internal22HipKernelLauncherFixedILi1024ENS0_8LoopDataIN4camp5tupleIJNS_4SpanINS_9Iterators16numeric_iteratorIiiPiEEiEESA_SA_EEENS4_IJEEENS3_9resources2v13HipEJZ4mainEUliiiE0_EEENS0_24HipStatementListExecutorISH_NS3_4listIJNS_9statement3ForILl2ENS_6policy3hip11hip_indexerINS_17iteration_mapping11StridedLoopILm0EEELNS_23kernel_sync_requirementE0EJNS_3hip11IndexGlobalILNS_9named_dimE2ELi0ELin1EEEEEEJNSL_ILl1ENSO_ISR_LSS_0EJNSU_ILSV_1ELi0ELin1EEEEEEJNSL_ILl0ENSO_ISR_LSS_0EJNSU_ILSV_0ELi0ELin1EEEEEEJNSK_6LambdaILl0EJEEEEEEEEEEEEEEENS0_9LoopTypesINSJ_IJvvvEEES19_EEEEEEvT0_.numbered_sgpr, 34
	.set _ZN4RAJA8internal22HipKernelLauncherFixedILi1024ENS0_8LoopDataIN4camp5tupleIJNS_4SpanINS_9Iterators16numeric_iteratorIiiPiEEiEESA_SA_EEENS4_IJEEENS3_9resources2v13HipEJZ4mainEUliiiE0_EEENS0_24HipStatementListExecutorISH_NS3_4listIJNS_9statement3ForILl2ENS_6policy3hip11hip_indexerINS_17iteration_mapping11StridedLoopILm0EEELNS_23kernel_sync_requirementE0EJNS_3hip11IndexGlobalILNS_9named_dimE2ELi0ELin1EEEEEEJNSL_ILl1ENSO_ISR_LSS_0EJNSU_ILSV_1ELi0ELin1EEEEEEJNSL_ILl0ENSO_ISR_LSS_0EJNSU_ILSV_0ELi0ELin1EEEEEEJNSK_6LambdaILl0EJEEEEEEEEEEEEEEENS0_9LoopTypesINSJ_IJvvvEEES19_EEEEEEvT0_.num_named_barrier, 0
	.set _ZN4RAJA8internal22HipKernelLauncherFixedILi1024ENS0_8LoopDataIN4camp5tupleIJNS_4SpanINS_9Iterators16numeric_iteratorIiiPiEEiEESA_SA_EEENS4_IJEEENS3_9resources2v13HipEJZ4mainEUliiiE0_EEENS0_24HipStatementListExecutorISH_NS3_4listIJNS_9statement3ForILl2ENS_6policy3hip11hip_indexerINS_17iteration_mapping11StridedLoopILm0EEELNS_23kernel_sync_requirementE0EJNS_3hip11IndexGlobalILNS_9named_dimE2ELi0ELin1EEEEEEJNSL_ILl1ENSO_ISR_LSS_0EJNSU_ILSV_1ELi0ELin1EEEEEEJNSL_ILl0ENSO_ISR_LSS_0EJNSU_ILSV_0ELi0ELin1EEEEEEJNSK_6LambdaILl0EJEEEEEEEEEEEEEEENS0_9LoopTypesINSJ_IJvvvEEES19_EEEEEEvT0_.private_seg_size, 0
	.set _ZN4RAJA8internal22HipKernelLauncherFixedILi1024ENS0_8LoopDataIN4camp5tupleIJNS_4SpanINS_9Iterators16numeric_iteratorIiiPiEEiEESA_SA_EEENS4_IJEEENS3_9resources2v13HipEJZ4mainEUliiiE0_EEENS0_24HipStatementListExecutorISH_NS3_4listIJNS_9statement3ForILl2ENS_6policy3hip11hip_indexerINS_17iteration_mapping11StridedLoopILm0EEELNS_23kernel_sync_requirementE0EJNS_3hip11IndexGlobalILNS_9named_dimE2ELi0ELin1EEEEEEJNSL_ILl1ENSO_ISR_LSS_0EJNSU_ILSV_1ELi0ELin1EEEEEEJNSL_ILl0ENSO_ISR_LSS_0EJNSU_ILSV_0ELi0ELin1EEEEEEJNSK_6LambdaILl0EJEEEEEEEEEEEEEEENS0_9LoopTypesINSJ_IJvvvEEES19_EEEEEEvT0_.uses_vcc, 1
	.set _ZN4RAJA8internal22HipKernelLauncherFixedILi1024ENS0_8LoopDataIN4camp5tupleIJNS_4SpanINS_9Iterators16numeric_iteratorIiiPiEEiEESA_SA_EEENS4_IJEEENS3_9resources2v13HipEJZ4mainEUliiiE0_EEENS0_24HipStatementListExecutorISH_NS3_4listIJNS_9statement3ForILl2ENS_6policy3hip11hip_indexerINS_17iteration_mapping11StridedLoopILm0EEELNS_23kernel_sync_requirementE0EJNS_3hip11IndexGlobalILNS_9named_dimE2ELi0ELin1EEEEEEJNSL_ILl1ENSO_ISR_LSS_0EJNSU_ILSV_1ELi0ELin1EEEEEEJNSL_ILl0ENSO_ISR_LSS_0EJNSU_ILSV_0ELi0ELin1EEEEEEJNSK_6LambdaILl0EJEEEEEEEEEEEEEEENS0_9LoopTypesINSJ_IJvvvEEES19_EEEEEEvT0_.uses_flat_scratch, 0
	.set _ZN4RAJA8internal22HipKernelLauncherFixedILi1024ENS0_8LoopDataIN4camp5tupleIJNS_4SpanINS_9Iterators16numeric_iteratorIiiPiEEiEESA_SA_EEENS4_IJEEENS3_9resources2v13HipEJZ4mainEUliiiE0_EEENS0_24HipStatementListExecutorISH_NS3_4listIJNS_9statement3ForILl2ENS_6policy3hip11hip_indexerINS_17iteration_mapping11StridedLoopILm0EEELNS_23kernel_sync_requirementE0EJNS_3hip11IndexGlobalILNS_9named_dimE2ELi0ELin1EEEEEEJNSL_ILl1ENSO_ISR_LSS_0EJNSU_ILSV_1ELi0ELin1EEEEEEJNSL_ILl0ENSO_ISR_LSS_0EJNSU_ILSV_0ELi0ELin1EEEEEEJNSK_6LambdaILl0EJEEEEEEEEEEEEEEENS0_9LoopTypesINSJ_IJvvvEEES19_EEEEEEvT0_.has_dyn_sized_stack, 0
	.set _ZN4RAJA8internal22HipKernelLauncherFixedILi1024ENS0_8LoopDataIN4camp5tupleIJNS_4SpanINS_9Iterators16numeric_iteratorIiiPiEEiEESA_SA_EEENS4_IJEEENS3_9resources2v13HipEJZ4mainEUliiiE0_EEENS0_24HipStatementListExecutorISH_NS3_4listIJNS_9statement3ForILl2ENS_6policy3hip11hip_indexerINS_17iteration_mapping11StridedLoopILm0EEELNS_23kernel_sync_requirementE0EJNS_3hip11IndexGlobalILNS_9named_dimE2ELi0ELin1EEEEEEJNSL_ILl1ENSO_ISR_LSS_0EJNSU_ILSV_1ELi0ELin1EEEEEEJNSL_ILl0ENSO_ISR_LSS_0EJNSU_ILSV_0ELi0ELin1EEEEEEJNSK_6LambdaILl0EJEEEEEEEEEEEEEEENS0_9LoopTypesINSJ_IJvvvEEES19_EEEEEEvT0_.has_recursion, 0
	.set _ZN4RAJA8internal22HipKernelLauncherFixedILi1024ENS0_8LoopDataIN4camp5tupleIJNS_4SpanINS_9Iterators16numeric_iteratorIiiPiEEiEESA_SA_EEENS4_IJEEENS3_9resources2v13HipEJZ4mainEUliiiE0_EEENS0_24HipStatementListExecutorISH_NS3_4listIJNS_9statement3ForILl2ENS_6policy3hip11hip_indexerINS_17iteration_mapping11StridedLoopILm0EEELNS_23kernel_sync_requirementE0EJNS_3hip11IndexGlobalILNS_9named_dimE2ELi0ELin1EEEEEEJNSL_ILl1ENSO_ISR_LSS_0EJNSU_ILSV_1ELi0ELin1EEEEEEJNSL_ILl0ENSO_ISR_LSS_0EJNSU_ILSV_0ELi0ELin1EEEEEEJNSK_6LambdaILl0EJEEEEEEEEEEEEEEENS0_9LoopTypesINSJ_IJvvvEEES19_EEEEEEvT0_.has_indirect_call, 0
	.section	.AMDGPU.csdata,"",@progbits
; Kernel info:
; codeLenInByte = 440
; TotalNumSgprs: 38
; NumVgprs: 18
; ScratchSize: 0
; MemoryBound: 0
; FloatMode: 240
; IeeeMode: 1
; LDSByteSize: 0 bytes/workgroup (compile time only)
; SGPRBlocks: 4
; VGPRBlocks: 4
; NumSGPRsForWavesPerEU: 38
; NumVGPRsForWavesPerEU: 18
; Occupancy: 10
; WaveLimiterHint : 0
; COMPUTE_PGM_RSRC2:SCRATCH_EN: 0
; COMPUTE_PGM_RSRC2:USER_SGPR: 6
; COMPUTE_PGM_RSRC2:TRAP_HANDLER: 0
; COMPUTE_PGM_RSRC2:TGID_X_EN: 1
; COMPUTE_PGM_RSRC2:TGID_Y_EN: 0
; COMPUTE_PGM_RSRC2:TGID_Z_EN: 0
; COMPUTE_PGM_RSRC2:TIDIG_COMP_CNT: 2
	.section	.text._ZN4RAJA8internal22HipKernelLauncherFixedILi256ENS0_8LoopDataIN4camp5tupleIJNS_4SpanINS_9Iterators16numeric_iteratorIiiPiEEiEESA_SA_EEENS4_IJEEENS3_9resources2v13HipEJZ4mainEUliiiE1_EEENS0_24HipStatementListExecutorISH_NS3_4listIJNS_9statement4TileILl1ENS_10tile_fixedILl8EEENS_6policy3hip11hip_indexerINS_17iteration_mapping6DirectELNS_23kernel_sync_requirementE0EJNS_3hip11IndexGlobalILNS_9named_dimE1ELin1ELi0EEEEEEJNSL_ILl0ENSM_ILl32EEENSQ_ISS_LST_0EJNSV_ILSW_0ELin1ELi0EEEEEEJNSK_3ForILl2ENSQ_ISS_LST_0EJNSV_ILSW_2ELin1ELi0EEEEEEJNS12_ILl1ENSQ_ISS_LST_0EJNSV_ILSW_1ELi0ELin1EEEEEEJNS12_ILl0ENSQ_ISS_LST_0EJNSV_ILSW_0ELi0ELin1EEEEEEJNSK_6LambdaILl0EJEEEEEEEEEEEEEEEEEEEEENS0_9LoopTypesINSJ_IJvvvEEES1I_EEEEEEvT0_,"axG",@progbits,_ZN4RAJA8internal22HipKernelLauncherFixedILi256ENS0_8LoopDataIN4camp5tupleIJNS_4SpanINS_9Iterators16numeric_iteratorIiiPiEEiEESA_SA_EEENS4_IJEEENS3_9resources2v13HipEJZ4mainEUliiiE1_EEENS0_24HipStatementListExecutorISH_NS3_4listIJNS_9statement4TileILl1ENS_10tile_fixedILl8EEENS_6policy3hip11hip_indexerINS_17iteration_mapping6DirectELNS_23kernel_sync_requirementE0EJNS_3hip11IndexGlobalILNS_9named_dimE1ELin1ELi0EEEEEEJNSL_ILl0ENSM_ILl32EEENSQ_ISS_LST_0EJNSV_ILSW_0ELin1ELi0EEEEEEJNSK_3ForILl2ENSQ_ISS_LST_0EJNSV_ILSW_2ELin1ELi0EEEEEEJNS12_ILl1ENSQ_ISS_LST_0EJNSV_ILSW_1ELi0ELin1EEEEEEJNS12_ILl0ENSQ_ISS_LST_0EJNSV_ILSW_0ELi0ELin1EEEEEEJNSK_6LambdaILl0EJEEEEEEEEEEEEEEEEEEEEENS0_9LoopTypesINSJ_IJvvvEEES1I_EEEEEEvT0_,comdat
	.globl	_ZN4RAJA8internal22HipKernelLauncherFixedILi256ENS0_8LoopDataIN4camp5tupleIJNS_4SpanINS_9Iterators16numeric_iteratorIiiPiEEiEESA_SA_EEENS4_IJEEENS3_9resources2v13HipEJZ4mainEUliiiE1_EEENS0_24HipStatementListExecutorISH_NS3_4listIJNS_9statement4TileILl1ENS_10tile_fixedILl8EEENS_6policy3hip11hip_indexerINS_17iteration_mapping6DirectELNS_23kernel_sync_requirementE0EJNS_3hip11IndexGlobalILNS_9named_dimE1ELin1ELi0EEEEEEJNSL_ILl0ENSM_ILl32EEENSQ_ISS_LST_0EJNSV_ILSW_0ELin1ELi0EEEEEEJNSK_3ForILl2ENSQ_ISS_LST_0EJNSV_ILSW_2ELin1ELi0EEEEEEJNS12_ILl1ENSQ_ISS_LST_0EJNSV_ILSW_1ELi0ELin1EEEEEEJNS12_ILl0ENSQ_ISS_LST_0EJNSV_ILSW_0ELi0ELin1EEEEEEJNSK_6LambdaILl0EJEEEEEEEEEEEEEEEEEEEEENS0_9LoopTypesINSJ_IJvvvEEES1I_EEEEEEvT0_ ; -- Begin function _ZN4RAJA8internal22HipKernelLauncherFixedILi256ENS0_8LoopDataIN4camp5tupleIJNS_4SpanINS_9Iterators16numeric_iteratorIiiPiEEiEESA_SA_EEENS4_IJEEENS3_9resources2v13HipEJZ4mainEUliiiE1_EEENS0_24HipStatementListExecutorISH_NS3_4listIJNS_9statement4TileILl1ENS_10tile_fixedILl8EEENS_6policy3hip11hip_indexerINS_17iteration_mapping6DirectELNS_23kernel_sync_requirementE0EJNS_3hip11IndexGlobalILNS_9named_dimE1ELin1ELi0EEEEEEJNSL_ILl0ENSM_ILl32EEENSQ_ISS_LST_0EJNSV_ILSW_0ELin1ELi0EEEEEEJNSK_3ForILl2ENSQ_ISS_LST_0EJNSV_ILSW_2ELin1ELi0EEEEEEJNS12_ILl1ENSQ_ISS_LST_0EJNSV_ILSW_1ELi0ELin1EEEEEEJNS12_ILl0ENSQ_ISS_LST_0EJNSV_ILSW_0ELi0ELin1EEEEEEJNSK_6LambdaILl0EJEEEEEEEEEEEEEEEEEEEEENS0_9LoopTypesINSJ_IJvvvEEES1I_EEEEEEvT0_
	.p2align	8
	.type	_ZN4RAJA8internal22HipKernelLauncherFixedILi256ENS0_8LoopDataIN4camp5tupleIJNS_4SpanINS_9Iterators16numeric_iteratorIiiPiEEiEESA_SA_EEENS4_IJEEENS3_9resources2v13HipEJZ4mainEUliiiE1_EEENS0_24HipStatementListExecutorISH_NS3_4listIJNS_9statement4TileILl1ENS_10tile_fixedILl8EEENS_6policy3hip11hip_indexerINS_17iteration_mapping6DirectELNS_23kernel_sync_requirementE0EJNS_3hip11IndexGlobalILNS_9named_dimE1ELin1ELi0EEEEEEJNSL_ILl0ENSM_ILl32EEENSQ_ISS_LST_0EJNSV_ILSW_0ELin1ELi0EEEEEEJNSK_3ForILl2ENSQ_ISS_LST_0EJNSV_ILSW_2ELin1ELi0EEEEEEJNS12_ILl1ENSQ_ISS_LST_0EJNSV_ILSW_1ELi0ELin1EEEEEEJNS12_ILl0ENSQ_ISS_LST_0EJNSV_ILSW_0ELi0ELin1EEEEEEJNSK_6LambdaILl0EJEEEEEEEEEEEEEEEEEEEEENS0_9LoopTypesINSJ_IJvvvEEES1I_EEEEEEvT0_,@function
_ZN4RAJA8internal22HipKernelLauncherFixedILi256ENS0_8LoopDataIN4camp5tupleIJNS_4SpanINS_9Iterators16numeric_iteratorIiiPiEEiEESA_SA_EEENS4_IJEEENS3_9resources2v13HipEJZ4mainEUliiiE1_EEENS0_24HipStatementListExecutorISH_NS3_4listIJNS_9statement4TileILl1ENS_10tile_fixedILl8EEENS_6policy3hip11hip_indexerINS_17iteration_mapping6DirectELNS_23kernel_sync_requirementE0EJNS_3hip11IndexGlobalILNS_9named_dimE1ELin1ELi0EEEEEEJNSL_ILl0ENSM_ILl32EEENSQ_ISS_LST_0EJNSV_ILSW_0ELin1ELi0EEEEEEJNSK_3ForILl2ENSQ_ISS_LST_0EJNSV_ILSW_2ELin1ELi0EEEEEEJNS12_ILl1ENSQ_ISS_LST_0EJNSV_ILSW_1ELi0ELin1EEEEEEJNS12_ILl0ENSQ_ISS_LST_0EJNSV_ILSW_0ELi0ELin1EEEEEEJNSK_6LambdaILl0EJEEEEEEEEEEEEEEEEEEEEENS0_9LoopTypesINSJ_IJvvvEEES1I_EEEEEEvT0_: ; @_ZN4RAJA8internal22HipKernelLauncherFixedILi256ENS0_8LoopDataIN4camp5tupleIJNS_4SpanINS_9Iterators16numeric_iteratorIiiPiEEiEESA_SA_EEENS4_IJEEENS3_9resources2v13HipEJZ4mainEUliiiE1_EEENS0_24HipStatementListExecutorISH_NS3_4listIJNS_9statement4TileILl1ENS_10tile_fixedILl8EEENS_6policy3hip11hip_indexerINS_17iteration_mapping6DirectELNS_23kernel_sync_requirementE0EJNS_3hip11IndexGlobalILNS_9named_dimE1ELin1ELi0EEEEEEJNSL_ILl0ENSM_ILl32EEENSQ_ISS_LST_0EJNSV_ILSW_0ELin1ELi0EEEEEEJNSK_3ForILl2ENSQ_ISS_LST_0EJNSV_ILSW_2ELin1ELi0EEEEEEJNS12_ILl1ENSQ_ISS_LST_0EJNSV_ILSW_1ELi0ELin1EEEEEEJNS12_ILl0ENSQ_ISS_LST_0EJNSV_ILSW_0ELi0ELin1EEEEEEJNSK_6LambdaILl0EJEEEEEEEEEEEEEEEEEEEEENS0_9LoopTypesINSJ_IJvvvEEES1I_EEEEEEvT0_
; %bb.0:
	s_load_dwordx4 s[12:15], s[4:5], 0x0
	s_load_dwordx2 s[0:1], s[4:5], 0x10
	s_lshl_b32 s3, s7, 3
	s_waitcnt lgkmcnt(0)
	s_sub_i32 s2, s15, s14
	s_cmp_lt_i32 s3, s2
	s_cselect_b64 s[10:11], -1, 0
	s_add_i32 s2, s3, s14
	s_add_i32 s3, s2, 8
	s_min_i32 s9, s3, s15
	s_sub_i32 s3, s13, s12
	s_lshl_b32 s14, s6, 5
	s_cmp_lt_i32 s14, s3
	s_cselect_b64 s[6:7], -1, 0
	s_add_i32 s3, s14, s12
	s_add_i32 s12, s3, 32
	s_min_i32 s12, s12, s13
	s_and_b64 s[6:7], s[6:7], s[10:11]
	s_sub_i32 s1, s1, s0
	s_cmp_lt_i32 s8, s1
	s_cselect_b64 s[10:11], -1, 0
	s_sub_i32 s1, s9, s2
	s_and_b64 s[6:7], s[10:11], s[6:7]
	v_cmp_gt_i32_e32 vcc, s1, v1
	s_sub_i32 s1, s12, s3
	s_and_b64 s[6:7], vcc, s[6:7]
	v_cmp_gt_i32_e32 vcc, s1, v0
	s_and_b64 s[6:7], vcc, s[6:7]
	s_and_saveexec_b64 s[10:11], s[6:7]
	s_cbranch_execz .LBB1_2
; %bb.1:
	v_add_u32_e32 v4, s3, v0
	v_cvt_f64_i32_e32 v[2:3], v4
	s_mov_b32 s6, 0xeb1c432d
	s_mov_b32 s7, 0x3f1a36e2
	v_add_u32_e32 v5, s2, v1
	v_mul_f64 v[2:3], v[2:3], s[6:7]
	v_cvt_f64_i32_e32 v[0:1], v5
	s_load_dwordx4 s[12:15], s[4:5], 0x44
	s_add_i32 s2, s0, s8
	s_load_dwordx2 s[0:1], s[4:5], 0x30
	s_waitcnt lgkmcnt(0)
	v_mul_lo_u32 v4, s12, v4
	v_mul_f64 v[0:1], v[2:3], v[0:1]
	v_cvt_f64_i32_e32 v[2:3], s2
	v_mul_lo_u32 v5, s13, v5
	s_mul_i32 s2, s14, s2
	v_mul_f64 v[0:1], v[0:1], v[2:3]
	v_add3_u32 v2, v5, s2, v4
	v_ashrrev_i32_e32 v3, 31, v2
	v_lshlrev_b64 v[2:3], 3, v[2:3]
	v_mov_b32_e32 v4, s1
	v_add_co_u32_e32 v2, vcc, s0, v2
	v_addc_co_u32_e32 v3, vcc, v4, v3, vcc
	global_store_dwordx2 v[2:3], v[0:1], off
.LBB1_2:
	s_endpgm
	.section	.rodata,"a",@progbits
	.p2align	6, 0x0
	.amdhsa_kernel _ZN4RAJA8internal22HipKernelLauncherFixedILi256ENS0_8LoopDataIN4camp5tupleIJNS_4SpanINS_9Iterators16numeric_iteratorIiiPiEEiEESA_SA_EEENS4_IJEEENS3_9resources2v13HipEJZ4mainEUliiiE1_EEENS0_24HipStatementListExecutorISH_NS3_4listIJNS_9statement4TileILl1ENS_10tile_fixedILl8EEENS_6policy3hip11hip_indexerINS_17iteration_mapping6DirectELNS_23kernel_sync_requirementE0EJNS_3hip11IndexGlobalILNS_9named_dimE1ELin1ELi0EEEEEEJNSL_ILl0ENSM_ILl32EEENSQ_ISS_LST_0EJNSV_ILSW_0ELin1ELi0EEEEEEJNSK_3ForILl2ENSQ_ISS_LST_0EJNSV_ILSW_2ELin1ELi0EEEEEEJNS12_ILl1ENSQ_ISS_LST_0EJNSV_ILSW_1ELi0ELin1EEEEEEJNS12_ILl0ENSQ_ISS_LST_0EJNSV_ILSW_0ELi0ELin1EEEEEEJNSK_6LambdaILl0EJEEEEEEEEEEEEEEEEEEEEENS0_9LoopTypesINSJ_IJvvvEEES1I_EEEEEEvT0_
		.amdhsa_group_segment_fixed_size 0
		.amdhsa_private_segment_fixed_size 0
		.amdhsa_kernarg_size 128
		.amdhsa_user_sgpr_count 6
		.amdhsa_user_sgpr_private_segment_buffer 1
		.amdhsa_user_sgpr_dispatch_ptr 0
		.amdhsa_user_sgpr_queue_ptr 0
		.amdhsa_user_sgpr_kernarg_segment_ptr 1
		.amdhsa_user_sgpr_dispatch_id 0
		.amdhsa_user_sgpr_flat_scratch_init 0
		.amdhsa_user_sgpr_private_segment_size 0
		.amdhsa_uses_dynamic_stack 0
		.amdhsa_system_sgpr_private_segment_wavefront_offset 0
		.amdhsa_system_sgpr_workgroup_id_x 1
		.amdhsa_system_sgpr_workgroup_id_y 1
		.amdhsa_system_sgpr_workgroup_id_z 1
		.amdhsa_system_sgpr_workgroup_info 0
		.amdhsa_system_vgpr_workitem_id 1
		.amdhsa_next_free_vgpr 6
		.amdhsa_next_free_sgpr 16
		.amdhsa_reserve_vcc 1
		.amdhsa_reserve_flat_scratch 0
		.amdhsa_float_round_mode_32 0
		.amdhsa_float_round_mode_16_64 0
		.amdhsa_float_denorm_mode_32 3
		.amdhsa_float_denorm_mode_16_64 3
		.amdhsa_dx10_clamp 1
		.amdhsa_ieee_mode 1
		.amdhsa_fp16_overflow 0
		.amdhsa_exception_fp_ieee_invalid_op 0
		.amdhsa_exception_fp_denorm_src 0
		.amdhsa_exception_fp_ieee_div_zero 0
		.amdhsa_exception_fp_ieee_overflow 0
		.amdhsa_exception_fp_ieee_underflow 0
		.amdhsa_exception_fp_ieee_inexact 0
		.amdhsa_exception_int_div_zero 0
	.end_amdhsa_kernel
	.section	.text._ZN4RAJA8internal22HipKernelLauncherFixedILi256ENS0_8LoopDataIN4camp5tupleIJNS_4SpanINS_9Iterators16numeric_iteratorIiiPiEEiEESA_SA_EEENS4_IJEEENS3_9resources2v13HipEJZ4mainEUliiiE1_EEENS0_24HipStatementListExecutorISH_NS3_4listIJNS_9statement4TileILl1ENS_10tile_fixedILl8EEENS_6policy3hip11hip_indexerINS_17iteration_mapping6DirectELNS_23kernel_sync_requirementE0EJNS_3hip11IndexGlobalILNS_9named_dimE1ELin1ELi0EEEEEEJNSL_ILl0ENSM_ILl32EEENSQ_ISS_LST_0EJNSV_ILSW_0ELin1ELi0EEEEEEJNSK_3ForILl2ENSQ_ISS_LST_0EJNSV_ILSW_2ELin1ELi0EEEEEEJNS12_ILl1ENSQ_ISS_LST_0EJNSV_ILSW_1ELi0ELin1EEEEEEJNS12_ILl0ENSQ_ISS_LST_0EJNSV_ILSW_0ELi0ELin1EEEEEEJNSK_6LambdaILl0EJEEEEEEEEEEEEEEEEEEEEENS0_9LoopTypesINSJ_IJvvvEEES1I_EEEEEEvT0_,"axG",@progbits,_ZN4RAJA8internal22HipKernelLauncherFixedILi256ENS0_8LoopDataIN4camp5tupleIJNS_4SpanINS_9Iterators16numeric_iteratorIiiPiEEiEESA_SA_EEENS4_IJEEENS3_9resources2v13HipEJZ4mainEUliiiE1_EEENS0_24HipStatementListExecutorISH_NS3_4listIJNS_9statement4TileILl1ENS_10tile_fixedILl8EEENS_6policy3hip11hip_indexerINS_17iteration_mapping6DirectELNS_23kernel_sync_requirementE0EJNS_3hip11IndexGlobalILNS_9named_dimE1ELin1ELi0EEEEEEJNSL_ILl0ENSM_ILl32EEENSQ_ISS_LST_0EJNSV_ILSW_0ELin1ELi0EEEEEEJNSK_3ForILl2ENSQ_ISS_LST_0EJNSV_ILSW_2ELin1ELi0EEEEEEJNS12_ILl1ENSQ_ISS_LST_0EJNSV_ILSW_1ELi0ELin1EEEEEEJNS12_ILl0ENSQ_ISS_LST_0EJNSV_ILSW_0ELi0ELin1EEEEEEJNSK_6LambdaILl0EJEEEEEEEEEEEEEEEEEEEEENS0_9LoopTypesINSJ_IJvvvEEES1I_EEEEEEvT0_,comdat
.Lfunc_end1:
	.size	_ZN4RAJA8internal22HipKernelLauncherFixedILi256ENS0_8LoopDataIN4camp5tupleIJNS_4SpanINS_9Iterators16numeric_iteratorIiiPiEEiEESA_SA_EEENS4_IJEEENS3_9resources2v13HipEJZ4mainEUliiiE1_EEENS0_24HipStatementListExecutorISH_NS3_4listIJNS_9statement4TileILl1ENS_10tile_fixedILl8EEENS_6policy3hip11hip_indexerINS_17iteration_mapping6DirectELNS_23kernel_sync_requirementE0EJNS_3hip11IndexGlobalILNS_9named_dimE1ELin1ELi0EEEEEEJNSL_ILl0ENSM_ILl32EEENSQ_ISS_LST_0EJNSV_ILSW_0ELin1ELi0EEEEEEJNSK_3ForILl2ENSQ_ISS_LST_0EJNSV_ILSW_2ELin1ELi0EEEEEEJNS12_ILl1ENSQ_ISS_LST_0EJNSV_ILSW_1ELi0ELin1EEEEEEJNS12_ILl0ENSQ_ISS_LST_0EJNSV_ILSW_0ELi0ELin1EEEEEEJNSK_6LambdaILl0EJEEEEEEEEEEEEEEEEEEEEENS0_9LoopTypesINSJ_IJvvvEEES1I_EEEEEEvT0_, .Lfunc_end1-_ZN4RAJA8internal22HipKernelLauncherFixedILi256ENS0_8LoopDataIN4camp5tupleIJNS_4SpanINS_9Iterators16numeric_iteratorIiiPiEEiEESA_SA_EEENS4_IJEEENS3_9resources2v13HipEJZ4mainEUliiiE1_EEENS0_24HipStatementListExecutorISH_NS3_4listIJNS_9statement4TileILl1ENS_10tile_fixedILl8EEENS_6policy3hip11hip_indexerINS_17iteration_mapping6DirectELNS_23kernel_sync_requirementE0EJNS_3hip11IndexGlobalILNS_9named_dimE1ELin1ELi0EEEEEEJNSL_ILl0ENSM_ILl32EEENSQ_ISS_LST_0EJNSV_ILSW_0ELin1ELi0EEEEEEJNSK_3ForILl2ENSQ_ISS_LST_0EJNSV_ILSW_2ELin1ELi0EEEEEEJNS12_ILl1ENSQ_ISS_LST_0EJNSV_ILSW_1ELi0ELin1EEEEEEJNS12_ILl0ENSQ_ISS_LST_0EJNSV_ILSW_0ELi0ELin1EEEEEEJNSK_6LambdaILl0EJEEEEEEEEEEEEEEEEEEEEENS0_9LoopTypesINSJ_IJvvvEEES1I_EEEEEEvT0_
                                        ; -- End function
	.set _ZN4RAJA8internal22HipKernelLauncherFixedILi256ENS0_8LoopDataIN4camp5tupleIJNS_4SpanINS_9Iterators16numeric_iteratorIiiPiEEiEESA_SA_EEENS4_IJEEENS3_9resources2v13HipEJZ4mainEUliiiE1_EEENS0_24HipStatementListExecutorISH_NS3_4listIJNS_9statement4TileILl1ENS_10tile_fixedILl8EEENS_6policy3hip11hip_indexerINS_17iteration_mapping6DirectELNS_23kernel_sync_requirementE0EJNS_3hip11IndexGlobalILNS_9named_dimE1ELin1ELi0EEEEEEJNSL_ILl0ENSM_ILl32EEENSQ_ISS_LST_0EJNSV_ILSW_0ELin1ELi0EEEEEEJNSK_3ForILl2ENSQ_ISS_LST_0EJNSV_ILSW_2ELin1ELi0EEEEEEJNS12_ILl1ENSQ_ISS_LST_0EJNSV_ILSW_1ELi0ELin1EEEEEEJNS12_ILl0ENSQ_ISS_LST_0EJNSV_ILSW_0ELi0ELin1EEEEEEJNSK_6LambdaILl0EJEEEEEEEEEEEEEEEEEEEEENS0_9LoopTypesINSJ_IJvvvEEES1I_EEEEEEvT0_.num_vgpr, 6
	.set _ZN4RAJA8internal22HipKernelLauncherFixedILi256ENS0_8LoopDataIN4camp5tupleIJNS_4SpanINS_9Iterators16numeric_iteratorIiiPiEEiEESA_SA_EEENS4_IJEEENS3_9resources2v13HipEJZ4mainEUliiiE1_EEENS0_24HipStatementListExecutorISH_NS3_4listIJNS_9statement4TileILl1ENS_10tile_fixedILl8EEENS_6policy3hip11hip_indexerINS_17iteration_mapping6DirectELNS_23kernel_sync_requirementE0EJNS_3hip11IndexGlobalILNS_9named_dimE1ELin1ELi0EEEEEEJNSL_ILl0ENSM_ILl32EEENSQ_ISS_LST_0EJNSV_ILSW_0ELin1ELi0EEEEEEJNSK_3ForILl2ENSQ_ISS_LST_0EJNSV_ILSW_2ELin1ELi0EEEEEEJNS12_ILl1ENSQ_ISS_LST_0EJNSV_ILSW_1ELi0ELin1EEEEEEJNS12_ILl0ENSQ_ISS_LST_0EJNSV_ILSW_0ELi0ELin1EEEEEEJNSK_6LambdaILl0EJEEEEEEEEEEEEEEEEEEEEENS0_9LoopTypesINSJ_IJvvvEEES1I_EEEEEEvT0_.num_agpr, 0
	.set _ZN4RAJA8internal22HipKernelLauncherFixedILi256ENS0_8LoopDataIN4camp5tupleIJNS_4SpanINS_9Iterators16numeric_iteratorIiiPiEEiEESA_SA_EEENS4_IJEEENS3_9resources2v13HipEJZ4mainEUliiiE1_EEENS0_24HipStatementListExecutorISH_NS3_4listIJNS_9statement4TileILl1ENS_10tile_fixedILl8EEENS_6policy3hip11hip_indexerINS_17iteration_mapping6DirectELNS_23kernel_sync_requirementE0EJNS_3hip11IndexGlobalILNS_9named_dimE1ELin1ELi0EEEEEEJNSL_ILl0ENSM_ILl32EEENSQ_ISS_LST_0EJNSV_ILSW_0ELin1ELi0EEEEEEJNSK_3ForILl2ENSQ_ISS_LST_0EJNSV_ILSW_2ELin1ELi0EEEEEEJNS12_ILl1ENSQ_ISS_LST_0EJNSV_ILSW_1ELi0ELin1EEEEEEJNS12_ILl0ENSQ_ISS_LST_0EJNSV_ILSW_0ELi0ELin1EEEEEEJNSK_6LambdaILl0EJEEEEEEEEEEEEEEEEEEEEENS0_9LoopTypesINSJ_IJvvvEEES1I_EEEEEEvT0_.numbered_sgpr, 16
	.set _ZN4RAJA8internal22HipKernelLauncherFixedILi256ENS0_8LoopDataIN4camp5tupleIJNS_4SpanINS_9Iterators16numeric_iteratorIiiPiEEiEESA_SA_EEENS4_IJEEENS3_9resources2v13HipEJZ4mainEUliiiE1_EEENS0_24HipStatementListExecutorISH_NS3_4listIJNS_9statement4TileILl1ENS_10tile_fixedILl8EEENS_6policy3hip11hip_indexerINS_17iteration_mapping6DirectELNS_23kernel_sync_requirementE0EJNS_3hip11IndexGlobalILNS_9named_dimE1ELin1ELi0EEEEEEJNSL_ILl0ENSM_ILl32EEENSQ_ISS_LST_0EJNSV_ILSW_0ELin1ELi0EEEEEEJNSK_3ForILl2ENSQ_ISS_LST_0EJNSV_ILSW_2ELin1ELi0EEEEEEJNS12_ILl1ENSQ_ISS_LST_0EJNSV_ILSW_1ELi0ELin1EEEEEEJNS12_ILl0ENSQ_ISS_LST_0EJNSV_ILSW_0ELi0ELin1EEEEEEJNSK_6LambdaILl0EJEEEEEEEEEEEEEEEEEEEEENS0_9LoopTypesINSJ_IJvvvEEES1I_EEEEEEvT0_.num_named_barrier, 0
	.set _ZN4RAJA8internal22HipKernelLauncherFixedILi256ENS0_8LoopDataIN4camp5tupleIJNS_4SpanINS_9Iterators16numeric_iteratorIiiPiEEiEESA_SA_EEENS4_IJEEENS3_9resources2v13HipEJZ4mainEUliiiE1_EEENS0_24HipStatementListExecutorISH_NS3_4listIJNS_9statement4TileILl1ENS_10tile_fixedILl8EEENS_6policy3hip11hip_indexerINS_17iteration_mapping6DirectELNS_23kernel_sync_requirementE0EJNS_3hip11IndexGlobalILNS_9named_dimE1ELin1ELi0EEEEEEJNSL_ILl0ENSM_ILl32EEENSQ_ISS_LST_0EJNSV_ILSW_0ELin1ELi0EEEEEEJNSK_3ForILl2ENSQ_ISS_LST_0EJNSV_ILSW_2ELin1ELi0EEEEEEJNS12_ILl1ENSQ_ISS_LST_0EJNSV_ILSW_1ELi0ELin1EEEEEEJNS12_ILl0ENSQ_ISS_LST_0EJNSV_ILSW_0ELi0ELin1EEEEEEJNSK_6LambdaILl0EJEEEEEEEEEEEEEEEEEEEEENS0_9LoopTypesINSJ_IJvvvEEES1I_EEEEEEvT0_.private_seg_size, 0
	.set _ZN4RAJA8internal22HipKernelLauncherFixedILi256ENS0_8LoopDataIN4camp5tupleIJNS_4SpanINS_9Iterators16numeric_iteratorIiiPiEEiEESA_SA_EEENS4_IJEEENS3_9resources2v13HipEJZ4mainEUliiiE1_EEENS0_24HipStatementListExecutorISH_NS3_4listIJNS_9statement4TileILl1ENS_10tile_fixedILl8EEENS_6policy3hip11hip_indexerINS_17iteration_mapping6DirectELNS_23kernel_sync_requirementE0EJNS_3hip11IndexGlobalILNS_9named_dimE1ELin1ELi0EEEEEEJNSL_ILl0ENSM_ILl32EEENSQ_ISS_LST_0EJNSV_ILSW_0ELin1ELi0EEEEEEJNSK_3ForILl2ENSQ_ISS_LST_0EJNSV_ILSW_2ELin1ELi0EEEEEEJNS12_ILl1ENSQ_ISS_LST_0EJNSV_ILSW_1ELi0ELin1EEEEEEJNS12_ILl0ENSQ_ISS_LST_0EJNSV_ILSW_0ELi0ELin1EEEEEEJNSK_6LambdaILl0EJEEEEEEEEEEEEEEEEEEEEENS0_9LoopTypesINSJ_IJvvvEEES1I_EEEEEEvT0_.uses_vcc, 1
	.set _ZN4RAJA8internal22HipKernelLauncherFixedILi256ENS0_8LoopDataIN4camp5tupleIJNS_4SpanINS_9Iterators16numeric_iteratorIiiPiEEiEESA_SA_EEENS4_IJEEENS3_9resources2v13HipEJZ4mainEUliiiE1_EEENS0_24HipStatementListExecutorISH_NS3_4listIJNS_9statement4TileILl1ENS_10tile_fixedILl8EEENS_6policy3hip11hip_indexerINS_17iteration_mapping6DirectELNS_23kernel_sync_requirementE0EJNS_3hip11IndexGlobalILNS_9named_dimE1ELin1ELi0EEEEEEJNSL_ILl0ENSM_ILl32EEENSQ_ISS_LST_0EJNSV_ILSW_0ELin1ELi0EEEEEEJNSK_3ForILl2ENSQ_ISS_LST_0EJNSV_ILSW_2ELin1ELi0EEEEEEJNS12_ILl1ENSQ_ISS_LST_0EJNSV_ILSW_1ELi0ELin1EEEEEEJNS12_ILl0ENSQ_ISS_LST_0EJNSV_ILSW_0ELi0ELin1EEEEEEJNSK_6LambdaILl0EJEEEEEEEEEEEEEEEEEEEEENS0_9LoopTypesINSJ_IJvvvEEES1I_EEEEEEvT0_.uses_flat_scratch, 0
	.set _ZN4RAJA8internal22HipKernelLauncherFixedILi256ENS0_8LoopDataIN4camp5tupleIJNS_4SpanINS_9Iterators16numeric_iteratorIiiPiEEiEESA_SA_EEENS4_IJEEENS3_9resources2v13HipEJZ4mainEUliiiE1_EEENS0_24HipStatementListExecutorISH_NS3_4listIJNS_9statement4TileILl1ENS_10tile_fixedILl8EEENS_6policy3hip11hip_indexerINS_17iteration_mapping6DirectELNS_23kernel_sync_requirementE0EJNS_3hip11IndexGlobalILNS_9named_dimE1ELin1ELi0EEEEEEJNSL_ILl0ENSM_ILl32EEENSQ_ISS_LST_0EJNSV_ILSW_0ELin1ELi0EEEEEEJNSK_3ForILl2ENSQ_ISS_LST_0EJNSV_ILSW_2ELin1ELi0EEEEEEJNS12_ILl1ENSQ_ISS_LST_0EJNSV_ILSW_1ELi0ELin1EEEEEEJNS12_ILl0ENSQ_ISS_LST_0EJNSV_ILSW_0ELi0ELin1EEEEEEJNSK_6LambdaILl0EJEEEEEEEEEEEEEEEEEEEEENS0_9LoopTypesINSJ_IJvvvEEES1I_EEEEEEvT0_.has_dyn_sized_stack, 0
	.set _ZN4RAJA8internal22HipKernelLauncherFixedILi256ENS0_8LoopDataIN4camp5tupleIJNS_4SpanINS_9Iterators16numeric_iteratorIiiPiEEiEESA_SA_EEENS4_IJEEENS3_9resources2v13HipEJZ4mainEUliiiE1_EEENS0_24HipStatementListExecutorISH_NS3_4listIJNS_9statement4TileILl1ENS_10tile_fixedILl8EEENS_6policy3hip11hip_indexerINS_17iteration_mapping6DirectELNS_23kernel_sync_requirementE0EJNS_3hip11IndexGlobalILNS_9named_dimE1ELin1ELi0EEEEEEJNSL_ILl0ENSM_ILl32EEENSQ_ISS_LST_0EJNSV_ILSW_0ELin1ELi0EEEEEEJNSK_3ForILl2ENSQ_ISS_LST_0EJNSV_ILSW_2ELin1ELi0EEEEEEJNS12_ILl1ENSQ_ISS_LST_0EJNSV_ILSW_1ELi0ELin1EEEEEEJNS12_ILl0ENSQ_ISS_LST_0EJNSV_ILSW_0ELi0ELin1EEEEEEJNSK_6LambdaILl0EJEEEEEEEEEEEEEEEEEEEEENS0_9LoopTypesINSJ_IJvvvEEES1I_EEEEEEvT0_.has_recursion, 0
	.set _ZN4RAJA8internal22HipKernelLauncherFixedILi256ENS0_8LoopDataIN4camp5tupleIJNS_4SpanINS_9Iterators16numeric_iteratorIiiPiEEiEESA_SA_EEENS4_IJEEENS3_9resources2v13HipEJZ4mainEUliiiE1_EEENS0_24HipStatementListExecutorISH_NS3_4listIJNS_9statement4TileILl1ENS_10tile_fixedILl8EEENS_6policy3hip11hip_indexerINS_17iteration_mapping6DirectELNS_23kernel_sync_requirementE0EJNS_3hip11IndexGlobalILNS_9named_dimE1ELin1ELi0EEEEEEJNSL_ILl0ENSM_ILl32EEENSQ_ISS_LST_0EJNSV_ILSW_0ELin1ELi0EEEEEEJNSK_3ForILl2ENSQ_ISS_LST_0EJNSV_ILSW_2ELin1ELi0EEEEEEJNS12_ILl1ENSQ_ISS_LST_0EJNSV_ILSW_1ELi0ELin1EEEEEEJNS12_ILl0ENSQ_ISS_LST_0EJNSV_ILSW_0ELi0ELin1EEEEEEJNSK_6LambdaILl0EJEEEEEEEEEEEEEEEEEEEEENS0_9LoopTypesINSJ_IJvvvEEES1I_EEEEEEvT0_.has_indirect_call, 0
	.section	.AMDGPU.csdata,"",@progbits
; Kernel info:
; codeLenInByte = 276
; TotalNumSgprs: 20
; NumVgprs: 6
; ScratchSize: 0
; MemoryBound: 0
; FloatMode: 240
; IeeeMode: 1
; LDSByteSize: 0 bytes/workgroup (compile time only)
; SGPRBlocks: 2
; VGPRBlocks: 1
; NumSGPRsForWavesPerEU: 20
; NumVGPRsForWavesPerEU: 6
; Occupancy: 10
; WaveLimiterHint : 0
; COMPUTE_PGM_RSRC2:SCRATCH_EN: 0
; COMPUTE_PGM_RSRC2:USER_SGPR: 6
; COMPUTE_PGM_RSRC2:TRAP_HANDLER: 0
; COMPUTE_PGM_RSRC2:TGID_X_EN: 1
; COMPUTE_PGM_RSRC2:TGID_Y_EN: 1
; COMPUTE_PGM_RSRC2:TGID_Z_EN: 1
; COMPUTE_PGM_RSRC2:TIDIG_COMP_CNT: 1
	.section	.AMDGPU.gpr_maximums,"",@progbits
	.set amdgpu.max_num_vgpr, 0
	.set amdgpu.max_num_agpr, 0
	.set amdgpu.max_num_sgpr, 0
	.section	.AMDGPU.csdata,"",@progbits
	.type	__hip_cuid_43bf144d5cd79f86,@object ; @__hip_cuid_43bf144d5cd79f86
	.section	.bss,"aw",@nobits
	.globl	__hip_cuid_43bf144d5cd79f86
__hip_cuid_43bf144d5cd79f86:
	.byte	0                               ; 0x0
	.size	__hip_cuid_43bf144d5cd79f86, 1

	.ident	"AMD clang version 22.0.0git (https://github.com/RadeonOpenCompute/llvm-project roc-7.2.4 26084 f58b06dce1f9c15707c5f808fd002e18c2accf7e)"
	.section	".note.GNU-stack","",@progbits
	.addrsig
	.addrsig_sym __hip_cuid_43bf144d5cd79f86
	.amdgpu_metadata
---
amdhsa.kernels:
  - .args:
      - .offset:         0
        .size:           128
        .value_kind:     by_value
      - .offset:         128
        .size:           4
        .value_kind:     hidden_block_count_x
      - .offset:         132
        .size:           4
        .value_kind:     hidden_block_count_y
      - .offset:         136
        .size:           4
        .value_kind:     hidden_block_count_z
      - .offset:         140
        .size:           2
        .value_kind:     hidden_group_size_x
      - .offset:         142
        .size:           2
        .value_kind:     hidden_group_size_y
      - .offset:         144
        .size:           2
        .value_kind:     hidden_group_size_z
      - .offset:         146
        .size:           2
        .value_kind:     hidden_remainder_x
      - .offset:         148
        .size:           2
        .value_kind:     hidden_remainder_y
      - .offset:         150
        .size:           2
        .value_kind:     hidden_remainder_z
      - .offset:         168
        .size:           8
        .value_kind:     hidden_global_offset_x
      - .offset:         176
        .size:           8
        .value_kind:     hidden_global_offset_y
      - .offset:         184
        .size:           8
        .value_kind:     hidden_global_offset_z
      - .offset:         192
        .size:           2
        .value_kind:     hidden_grid_dims
    .group_segment_fixed_size: 0
    .kernarg_segment_align: 8
    .kernarg_segment_size: 384
    .language:       OpenCL C
    .language_version:
      - 2
      - 0
    .max_flat_workgroup_size: 1024
    .name:           _ZN4RAJA8internal22HipKernelLauncherFixedILi1024ENS0_8LoopDataIN4camp5tupleIJNS_4SpanINS_9Iterators16numeric_iteratorIiiPiEEiEESA_SA_EEENS4_IJEEENS3_9resources2v13HipEJZ4mainEUliiiE0_EEENS0_24HipStatementListExecutorISH_NS3_4listIJNS_9statement3ForILl2ENS_6policy3hip11hip_indexerINS_17iteration_mapping11StridedLoopILm0EEELNS_23kernel_sync_requirementE0EJNS_3hip11IndexGlobalILNS_9named_dimE2ELi0ELin1EEEEEEJNSL_ILl1ENSO_ISR_LSS_0EJNSU_ILSV_1ELi0ELin1EEEEEEJNSL_ILl0ENSO_ISR_LSS_0EJNSU_ILSV_0ELi0ELin1EEEEEEJNSK_6LambdaILl0EJEEEEEEEEEEEEEEENS0_9LoopTypesINSJ_IJvvvEEES19_EEEEEEvT0_
    .private_segment_fixed_size: 0
    .sgpr_count:     38
    .sgpr_spill_count: 0
    .symbol:         _ZN4RAJA8internal22HipKernelLauncherFixedILi1024ENS0_8LoopDataIN4camp5tupleIJNS_4SpanINS_9Iterators16numeric_iteratorIiiPiEEiEESA_SA_EEENS4_IJEEENS3_9resources2v13HipEJZ4mainEUliiiE0_EEENS0_24HipStatementListExecutorISH_NS3_4listIJNS_9statement3ForILl2ENS_6policy3hip11hip_indexerINS_17iteration_mapping11StridedLoopILm0EEELNS_23kernel_sync_requirementE0EJNS_3hip11IndexGlobalILNS_9named_dimE2ELi0ELin1EEEEEEJNSL_ILl1ENSO_ISR_LSS_0EJNSU_ILSV_1ELi0ELin1EEEEEEJNSL_ILl0ENSO_ISR_LSS_0EJNSU_ILSV_0ELi0ELin1EEEEEEJNSK_6LambdaILl0EJEEEEEEEEEEEEEEENS0_9LoopTypesINSJ_IJvvvEEES19_EEEEEEvT0_.kd
    .uniform_work_group_size: 1
    .uses_dynamic_stack: false
    .vgpr_count:     18
    .vgpr_spill_count: 0
    .wavefront_size: 64
  - .args:
      - .offset:         0
        .size:           128
        .value_kind:     by_value
    .group_segment_fixed_size: 0
    .kernarg_segment_align: 8
    .kernarg_segment_size: 128
    .language:       OpenCL C
    .language_version:
      - 2
      - 0
    .max_flat_workgroup_size: 256
    .name:           _ZN4RAJA8internal22HipKernelLauncherFixedILi256ENS0_8LoopDataIN4camp5tupleIJNS_4SpanINS_9Iterators16numeric_iteratorIiiPiEEiEESA_SA_EEENS4_IJEEENS3_9resources2v13HipEJZ4mainEUliiiE1_EEENS0_24HipStatementListExecutorISH_NS3_4listIJNS_9statement4TileILl1ENS_10tile_fixedILl8EEENS_6policy3hip11hip_indexerINS_17iteration_mapping6DirectELNS_23kernel_sync_requirementE0EJNS_3hip11IndexGlobalILNS_9named_dimE1ELin1ELi0EEEEEEJNSL_ILl0ENSM_ILl32EEENSQ_ISS_LST_0EJNSV_ILSW_0ELin1ELi0EEEEEEJNSK_3ForILl2ENSQ_ISS_LST_0EJNSV_ILSW_2ELin1ELi0EEEEEEJNS12_ILl1ENSQ_ISS_LST_0EJNSV_ILSW_1ELi0ELin1EEEEEEJNS12_ILl0ENSQ_ISS_LST_0EJNSV_ILSW_0ELi0ELin1EEEEEEJNSK_6LambdaILl0EJEEEEEEEEEEEEEEEEEEEEENS0_9LoopTypesINSJ_IJvvvEEES1I_EEEEEEvT0_
    .private_segment_fixed_size: 0
    .sgpr_count:     20
    .sgpr_spill_count: 0
    .symbol:         _ZN4RAJA8internal22HipKernelLauncherFixedILi256ENS0_8LoopDataIN4camp5tupleIJNS_4SpanINS_9Iterators16numeric_iteratorIiiPiEEiEESA_SA_EEENS4_IJEEENS3_9resources2v13HipEJZ4mainEUliiiE1_EEENS0_24HipStatementListExecutorISH_NS3_4listIJNS_9statement4TileILl1ENS_10tile_fixedILl8EEENS_6policy3hip11hip_indexerINS_17iteration_mapping6DirectELNS_23kernel_sync_requirementE0EJNS_3hip11IndexGlobalILNS_9named_dimE1ELin1ELi0EEEEEEJNSL_ILl0ENSM_ILl32EEENSQ_ISS_LST_0EJNSV_ILSW_0ELin1ELi0EEEEEEJNSK_3ForILl2ENSQ_ISS_LST_0EJNSV_ILSW_2ELin1ELi0EEEEEEJNS12_ILl1ENSQ_ISS_LST_0EJNSV_ILSW_1ELi0ELin1EEEEEEJNS12_ILl0ENSQ_ISS_LST_0EJNSV_ILSW_0ELi0ELin1EEEEEEJNSK_6LambdaILl0EJEEEEEEEEEEEEEEEEEEEEENS0_9LoopTypesINSJ_IJvvvEEES1I_EEEEEEvT0_.kd
    .uniform_work_group_size: 1
    .uses_dynamic_stack: false
    .vgpr_count:     6
    .vgpr_spill_count: 0
    .wavefront_size: 64
amdhsa.target:   amdgcn-amd-amdhsa--gfx906
amdhsa.version:
  - 1
  - 2
...

	.end_amdgpu_metadata
